;; amdgpu-corpus repo=ROCm/rocFFT kind=compiled arch=gfx906 opt=O3
	.text
	.amdgcn_target "amdgcn-amd-amdhsa--gfx906"
	.amdhsa_code_object_version 6
	.protected	fft_rtc_back_len336_factors_8_2_3_7_wgs_252_tpt_42_dim3_dp_op_CI_CI_sbcr_dirReg_intrinsicReadWrite ; -- Begin function fft_rtc_back_len336_factors_8_2_3_7_wgs_252_tpt_42_dim3_dp_op_CI_CI_sbcr_dirReg_intrinsicReadWrite
	.globl	fft_rtc_back_len336_factors_8_2_3_7_wgs_252_tpt_42_dim3_dp_op_CI_CI_sbcr_dirReg_intrinsicReadWrite
	.p2align	8
	.type	fft_rtc_back_len336_factors_8_2_3_7_wgs_252_tpt_42_dim3_dp_op_CI_CI_sbcr_dirReg_intrinsicReadWrite,@function
fft_rtc_back_len336_factors_8_2_3_7_wgs_252_tpt_42_dim3_dp_op_CI_CI_sbcr_dirReg_intrinsicReadWrite: ; @fft_rtc_back_len336_factors_8_2_3_7_wgs_252_tpt_42_dim3_dp_op_CI_CI_sbcr_dirReg_intrinsicReadWrite
; %bb.0:
	s_load_dwordx4 s[0:3], s[4:5], 0x8
	s_mov_b32 s7, 0
	s_mov_b64 s[26:27], 0
	s_waitcnt lgkmcnt(0)
	s_load_dwordx2 s[10:11], s[0:1], 0x8
	s_waitcnt lgkmcnt(0)
	s_add_u32 s8, s10, -1
	s_addc_u32 s9, s11, -1
	s_add_u32 s12, 0, 0xaaa80000
	s_addc_u32 s13, 0, 0xaa
	s_mul_hi_u32 s15, s12, -6
	s_add_i32 s13, s13, 0x2aaaaa00
	s_sub_i32 s15, s15, s12
	s_mul_i32 s18, s13, -6
	s_mul_i32 s14, s12, -6
	s_add_i32 s15, s15, s18
	s_mul_hi_u32 s16, s13, s14
	s_mul_i32 s17, s13, s14
	s_mul_i32 s19, s12, s15
	s_mul_hi_u32 s14, s12, s14
	s_mul_hi_u32 s18, s12, s15
	s_add_u32 s14, s14, s19
	s_addc_u32 s18, 0, s18
	s_add_u32 s14, s14, s17
	s_mul_hi_u32 s19, s13, s15
	s_addc_u32 s14, s18, s16
	s_addc_u32 s16, s19, 0
	s_mul_i32 s15, s13, s15
	s_add_u32 s14, s14, s15
	v_mov_b32_e32 v1, s14
	s_addc_u32 s15, 0, s16
	v_add_co_u32_e32 v1, vcc, s12, v1
	s_cmp_lg_u64 vcc, 0
	s_addc_u32 s12, s13, s15
	v_readfirstlane_b32 s15, v1
	s_mul_i32 s14, s8, s12
	s_mul_hi_u32 s16, s8, s15
	s_mul_hi_u32 s13, s8, s12
	s_add_u32 s14, s16, s14
	s_addc_u32 s13, 0, s13
	s_mul_hi_u32 s17, s9, s15
	s_mul_i32 s15, s9, s15
	s_add_u32 s14, s14, s15
	s_mul_hi_u32 s16, s9, s12
	s_addc_u32 s13, s13, s17
	s_addc_u32 s14, s16, 0
	s_mul_i32 s12, s9, s12
	s_add_u32 s12, s13, s12
	s_addc_u32 s13, 0, s14
	s_add_u32 s14, s12, 1
	s_addc_u32 s15, s13, 0
	s_add_u32 s16, s12, 2
	s_mul_i32 s18, s13, 6
	s_mul_hi_u32 s19, s12, 6
	s_addc_u32 s17, s13, 0
	s_add_i32 s19, s19, s18
	s_mul_i32 s18, s12, 6
	v_mov_b32_e32 v1, s18
	v_sub_co_u32_e32 v1, vcc, s8, v1
	s_cmp_lg_u64 vcc, 0
	s_subb_u32 s8, s9, s19
	v_subrev_co_u32_e32 v2, vcc, 6, v1
	s_cmp_lg_u64 vcc, 0
	s_subb_u32 s9, s8, 0
	v_readfirstlane_b32 s18, v2
	s_cmp_gt_u32 s18, 5
	s_cselect_b32 s18, -1, 0
	s_cmp_eq_u32 s9, 0
	s_cselect_b32 s9, s18, -1
	s_cmp_lg_u32 s9, 0
	s_cselect_b32 s9, s16, s14
	s_cselect_b32 s14, s17, s15
	v_readfirstlane_b32 s15, v1
	s_cmp_gt_u32 s15, 5
	s_cselect_b32 s15, -1, 0
	s_cmp_eq_u32 s8, 0
	s_cselect_b32 s8, s15, -1
	s_cmp_lg_u32 s8, 0
	s_cselect_b32 s9, s9, s12
	s_cselect_b32 s8, s14, s13
	s_add_u32 s24, s9, 1
	s_addc_u32 s25, s8, 0
	v_mov_b32_e32 v1, s24
	v_mov_b32_e32 v2, s25
	v_cmp_lt_u64_e32 vcc, s[6:7], v[1:2]
	s_cbranch_vccnz .LBB0_2
; %bb.1:
	v_cvt_f32_u32_e32 v1, s24
	s_sub_i32 s8, 0, s24
	s_mov_b32 s27, s7
	v_rcp_iflag_f32_e32 v1, v1
	v_mul_f32_e32 v1, 0x4f7ffffe, v1
	v_cvt_u32_f32_e32 v1, v1
	v_readfirstlane_b32 s9, v1
	s_mul_i32 s8, s8, s9
	s_mul_hi_u32 s8, s9, s8
	s_add_i32 s9, s9, s8
	s_mul_hi_u32 s8, s6, s9
	s_mul_i32 s12, s8, s24
	s_sub_i32 s12, s6, s12
	s_add_i32 s9, s8, 1
	s_sub_i32 s13, s12, s24
	s_cmp_ge_u32 s12, s24
	s_cselect_b32 s8, s9, s8
	s_cselect_b32 s12, s13, s12
	s_add_i32 s9, s8, 1
	s_cmp_ge_u32 s12, s24
	s_cselect_b32 s26, s9, s8
.LBB0_2:
	s_load_dwordx2 s[18:19], s[0:1], 0x10
	s_load_dwordx2 s[8:9], s[4:5], 0x50
	;; [unrolled: 1-line block ×4, first 2 shown]
	s_load_dwordx4 s[12:15], s[2:3], 0x0
	s_waitcnt lgkmcnt(0)
	v_mov_b32_e32 v1, s18
	v_mov_b32_e32 v2, s19
	v_cmp_lt_u64_e32 vcc, s[26:27], v[1:2]
	s_mov_b64 s[16:17], s[26:27]
	s_cbranch_vccnz .LBB0_4
; %bb.3:
	v_cvt_f32_u32_e32 v1, s18
	s_sub_i32 s0, 0, s18
	v_rcp_iflag_f32_e32 v1, v1
	v_mul_f32_e32 v1, 0x4f7ffffe, v1
	v_cvt_u32_f32_e32 v1, v1
	v_readfirstlane_b32 s1, v1
	s_mul_i32 s0, s0, s1
	s_mul_hi_u32 s0, s1, s0
	s_add_i32 s1, s1, s0
	s_mul_hi_u32 s0, s26, s1
	s_mul_i32 s0, s0, s18
	s_sub_i32 s0, s26, s0
	s_sub_i32 s1, s0, s18
	s_cmp_ge_u32 s0, s18
	s_cselect_b32 s0, s1, s0
	s_sub_i32 s1, s0, s18
	s_cmp_ge_u32 s0, s18
	s_cselect_b32 s16, s1, s0
.LBB0_4:
	s_mul_i32 s0, s18, s25
	s_mul_hi_u32 s1, s18, s24
	s_add_i32 s0, s1, s0
	s_mul_i32 s1, s19, s24
	s_mul_i32 s28, s18, s24
	s_add_i32 s29, s0, s1
	s_load_dwordx2 s[0:1], s[2:3], 0x10
	v_mov_b32_e32 v1, s28
	v_mov_b32_e32 v2, s29
	v_cmp_lt_u64_e32 vcc, s[6:7], v[1:2]
	s_mov_b64 s[18:19], 0
	s_cbranch_vccnz .LBB0_6
; %bb.5:
	v_cvt_f32_u32_e32 v1, s28
	s_waitcnt lgkmcnt(0)
	s_sub_i32 s1, 0, s28
	v_rcp_iflag_f32_e32 v1, v1
	v_mul_f32_e32 v1, 0x4f7ffffe, v1
	v_cvt_u32_f32_e32 v1, v1
	v_readfirstlane_b32 s7, v1
	s_mul_i32 s1, s1, s7
	s_mul_hi_u32 s1, s7, s1
	s_add_i32 s7, s7, s1
	s_mul_hi_u32 s1, s6, s7
	s_mul_i32 s13, s1, s28
	s_sub_i32 s13, s6, s13
	s_add_i32 s7, s1, 1
	s_sub_i32 s15, s13, s28
	s_cmp_ge_u32 s13, s28
	s_cselect_b32 s1, s7, s1
	s_cselect_b32 s13, s15, s13
	s_add_i32 s7, s1, 1
	s_cmp_ge_u32 s13, s28
	s_cselect_b32 s18, s7, s1
.LBB0_6:
	s_waitcnt lgkmcnt(0)
	s_mul_i32 s1, s26, s25
	s_mul_hi_u32 s7, s26, s24
	s_load_dword s2, s[2:3], 0x18
	s_add_i32 s7, s7, s1
	s_mul_i32 s1, s26, s24
	v_mul_u32_u24_e32 v1, 0x2aab, v0
	s_sub_u32 s1, s6, s1
	v_lshrrev_b32_e32 v58, 16, v1
	s_subb_u32 s6, 0, s7
	s_mul_i32 s19, s1, 6
	v_mul_lo_u16_e32 v2, 6, v58
	s_mul_i32 s6, s6, 6
	s_mul_hi_u32 s7, s1, 6
	s_mul_i32 s1, s14, s19
	s_mul_i32 s0, s0, s16
	v_sub_u16_e32 v42, v0, v2
	s_add_i32 s17, s7, s6
	s_add_i32 s0, s0, s1
	s_waitcnt lgkmcnt(0)
	s_mul_i32 s1, s2, s18
	v_mul_lo_u32 v19, s14, v42
	v_mul_lo_u32 v4, s12, v58
	s_add_i32 s6, s1, s0
	v_mov_b32_e32 v3, s17
	v_add_co_u32_e64 v2, s[0:1], s19, v42
	v_addc_co_u32_e64 v3, s[0:1], 0, v3, s[0:1]
	v_cmp_gt_u64_e64 s[0:1], s[10:11], v[2:3]
	v_add_u32_e32 v3, 0xa8, v58
	s_add_u32 s2, s19, 6
	v_mov_b32_e32 v34, s11
	v_add_lshl_u32 v2, v19, v4, 4
	v_mul_lo_u32 v3, s12, v3
	v_add_u32_e32 v57, 42, v58
	v_add_u32_e32 v4, 0xd2, v58
	s_addc_u32 s3, s17, 0
	v_mov_b32_e32 v33, s10
	v_mul_lo_u32 v5, s12, v57
	v_mul_lo_u32 v4, s12, v4
	v_cmp_le_u64_e32 vcc, s[2:3], v[33:34]
	v_add_lshl_u32 v3, v19, v3, 4
	s_or_b64 vcc, vcc, s[0:1]
	s_lshl_b32 s6, s6, 4
	v_cndmask_b32_e32 v2, -1, v2, vcc
	s_mov_b32 s11, 0x20000
	s_mov_b32 s10, -2
	v_cndmask_b32_e32 v20, -1, v3, vcc
	v_add_lshl_u32 v3, v19, v5, 4
	v_add_lshl_u32 v4, v19, v4, 4
	v_cndmask_b32_e32 v21, -1, v3, vcc
	v_cndmask_b32_e32 v22, -1, v4, vcc
	buffer_load_dwordx4 v[3:6], v2, s[8:11], s6 offen
	buffer_load_dwordx4 v[7:10], v21, s[8:11], s6 offen
	;; [unrolled: 1-line block ×4, first 2 shown]
	v_add_u32_e32 v2, 0xfc, v58
	v_mul_lo_u32 v20, s12, v2
	v_add_u32_e32 v37, 0x54, v58
	v_add_u32_e32 v2, 0x7e, v58
	v_mul_lo_u32 v21, s12, v37
	v_mul_lo_u32 v22, s12, v2
	v_add_u32_e32 v23, 0x126, v58
	v_mul_lo_u32 v23, s12, v23
	v_add_lshl_u32 v21, v19, v21, 4
	v_add_lshl_u32 v27, v19, v22, 4
	;; [unrolled: 1-line block ×4, first 2 shown]
	v_cndmask_b32_e32 v29, -1, v21, vcc
	v_cndmask_b32_e32 v30, -1, v20, vcc
	;; [unrolled: 1-line block ×3, first 2 shown]
	buffer_load_dwordx4 v[19:22], v30, s[8:11], s6 offen
	buffer_load_dwordx4 v[23:26], v29, s[8:11], s6 offen
	v_cndmask_b32_e32 v32, -1, v28, vcc
	buffer_load_dwordx4 v[27:30], v31, s[8:11], s6 offen
	buffer_load_dwordx4 v[38:41], v32, s[8:11], s6 offen
	v_mul_u32_u24_e32 v43, 48, v58
	v_lshlrev_b32_e32 v54, 4, v43
	v_lshlrev_b32_e32 v60, 4, v42
	s_mov_b32 s0, 0x667f3bcd
	s_mov_b32 s1, 0xbfe6a09e
	;; [unrolled: 1-line block ×4, first 2 shown]
	s_load_dwordx8 s[8:15], s[22:23], 0x0
	v_cmp_gt_u64_e32 vcc, s[2:3], v[33:34]
	s_waitcnt vmcnt(5)
	v_add_f64 v[11:12], v[3:4], -v[11:12]
	v_add_f64 v[13:14], v[5:6], -v[13:14]
	s_waitcnt vmcnt(4)
	v_add_f64 v[15:16], v[7:8], -v[15:16]
	v_add_f64 v[17:18], v[9:10], -v[17:18]
	v_fma_f64 v[3:4], v[3:4], 2.0, -v[11:12]
	v_fma_f64 v[5:6], v[5:6], 2.0, -v[13:14]
	;; [unrolled: 1-line block ×4, first 2 shown]
	s_waitcnt vmcnt(2)
	v_add_f64 v[19:20], v[23:24], -v[19:20]
	v_add_f64 v[21:22], v[25:26], -v[21:22]
	s_waitcnt vmcnt(0)
	v_add_f64 v[31:32], v[29:30], -v[40:41]
	v_add_f64 v[35:36], v[27:28], -v[38:39]
	v_fma_f64 v[23:24], v[23:24], 2.0, -v[19:20]
	v_fma_f64 v[25:26], v[25:26], 2.0, -v[21:22]
	v_add_f64 v[38:39], v[15:16], v[31:32]
	v_add_f64 v[40:41], v[17:18], -v[35:36]
	v_fma_f64 v[27:28], v[27:28], 2.0, -v[35:36]
	v_fma_f64 v[29:30], v[29:30], 2.0, -v[31:32]
	v_add_f64 v[31:32], v[11:12], v[21:22]
	v_add_f64 v[35:36], v[13:14], -v[19:20]
	v_add_f64 v[21:22], v[3:4], -v[23:24]
	;; [unrolled: 1-line block ×3, first 2 shown]
	v_fma_f64 v[19:20], v[15:16], 2.0, -v[38:39]
	v_fma_f64 v[15:16], v[17:18], 2.0, -v[40:41]
	v_add_f64 v[17:18], v[7:8], -v[27:28]
	v_add_f64 v[25:26], v[9:10], -v[29:30]
	v_fma_f64 v[42:43], v[11:12], 2.0, -v[31:32]
	v_fma_f64 v[44:45], v[13:14], 2.0, -v[35:36]
	v_fma_f64 v[11:12], v[40:41], s[6:7], v[35:36]
	v_fma_f64 v[13:14], v[38:39], s[6:7], v[31:32]
	v_fma_f64 v[27:28], v[3:4], 2.0, -v[21:22]
	v_fma_f64 v[29:30], v[5:6], 2.0, -v[23:24]
	;; [unrolled: 1-line block ×4, first 2 shown]
	v_fma_f64 v[50:51], v[19:20], s[0:1], v[42:43]
	v_fma_f64 v[52:53], v[15:16], s[0:1], v[44:45]
	v_add_f64 v[3:4], v[21:22], v[25:26]
	v_add_f64 v[5:6], v[23:24], -v[17:18]
	v_fma_f64 v[7:8], v[40:41], s[6:7], v[13:14]
	v_fma_f64 v[9:10], v[38:39], s[0:1], v[11:12]
	v_add_f64 v[11:12], v[27:28], -v[46:47]
	v_add_f64 v[13:14], v[29:30], -v[48:49]
	v_fma_f64 v[15:16], v[15:16], s[6:7], v[50:51]
	v_fma_f64 v[17:18], v[19:20], s[0:1], v[52:53]
	v_fma_f64 v[19:20], v[21:22], 2.0, -v[3:4]
	v_fma_f64 v[21:22], v[23:24], 2.0, -v[5:6]
	;; [unrolled: 1-line block ×8, first 2 shown]
	v_add3_u32 v31, 0, v54, v60
	ds_write_b128 v31, v[3:6] offset:576
	ds_write_b128 v31, v[19:22] offset:192
	;; [unrolled: 1-line block ×5, first 2 shown]
	ds_write_b128 v31, v[27:30]
	ds_write_b128 v31, v[38:41] offset:96
	ds_write_b128 v31, v[7:10] offset:672
	v_bfe_u32 v19, v1, 16, 3
	v_lshlrev_b32_e32 v11, 4, v19
	v_and_b32_e32 v20, 7, v57
	s_waitcnt lgkmcnt(0)
	s_barrier
	v_lshlrev_b32_e32 v12, 4, v20
	global_load_dwordx4 v[3:6], v11, s[20:21]
	global_load_dwordx4 v[7:10], v12, s[20:21]
	v_and_b32_e32 v21, 7, v37
	v_lshlrev_b32_e32 v11, 4, v21
	v_and_b32_e32 v22, 7, v2
	global_load_dwordx4 v[11:14], v11, s[20:21]
	v_lshlrev_b32_e32 v15, 4, v22
	global_load_dwordx4 v[15:18], v15, s[20:21]
	s_movk_i32 s1, 0x70
	v_lshrrev_b32_e32 v1, 15, v1
	s_movk_i32 s6, 0xf0
	v_and_or_b32 v1, v1, s1, v19
	v_lshlrev_b32_e32 v19, 1, v57
	s_movk_i32 s0, 0xfd60
	s_movk_i32 s7, 0x1f0
	v_mul_u32_u24_e32 v1, 0x60, v1
	v_lshlrev_b32_e32 v23, 1, v37
	v_lshlrev_b32_e32 v2, 1, v2
	v_and_or_b32 v19, v19, s6, v20
	v_and_or_b32 v20, v23, s7, v21
	;; [unrolled: 1-line block ×3, first 2 shown]
	v_add3_u32 v56, 0, v1, v60
	v_mul_u32_u24_e32 v1, 0x60, v19
	v_mad_i32_i24 v59, v58, s0, v31
	v_mul_u32_u24_e32 v19, 0x60, v20
	v_mul_u32_u24_e32 v2, 0x60, v2
	v_add3_u32 v65, 0, v1, v60
	v_add_u32_e32 v1, 0x2800, v59
	v_add3_u32 v66, 0, v19, v60
	v_add3_u32 v67, 0, v2, v60
	ds_read_b128 v[19:22], v59 offset:16128
	ds_read_b128 v[23:26], v59 offset:8064
	;; [unrolled: 1-line block ×5, first 2 shown]
	ds_read_b128 v[46:49], v59
	ds_read_b128 v[50:53], v59 offset:4032
	ds_read2_b64 v[61:64], v1 offset0:232 offset1:233
	s_waitcnt vmcnt(0) lgkmcnt(0)
	s_barrier
	s_movk_i32 s0, 0xa8
	v_cmp_gt_u32_e64 s[0:1], s0, v0
	v_mul_f64 v[1:2], v[21:22], v[5:6]
	v_mul_f64 v[5:6], v[19:20], v[5:6]
	;; [unrolled: 1-line block ×8, first 2 shown]
	v_fma_f64 v[1:2], v[19:20], v[3:4], v[1:2]
	v_fma_f64 v[3:4], v[21:22], v[3:4], -v[5:6]
	v_fma_f64 v[5:6], v[27:28], v[7:8], v[31:32]
	v_fma_f64 v[7:8], v[29:30], v[7:8], -v[9:10]
	;; [unrolled: 2-line block ×4, first 2 shown]
	v_add_f64 v[1:2], v[46:47], -v[1:2]
	v_add_f64 v[3:4], v[48:49], -v[3:4]
	;; [unrolled: 1-line block ×8, first 2 shown]
	v_fma_f64 v[27:28], v[46:47], 2.0, -v[1:2]
	v_fma_f64 v[29:30], v[48:49], 2.0, -v[3:4]
	;; [unrolled: 1-line block ×8, first 2 shown]
	ds_write_b128 v56, v[1:4] offset:768
	ds_write_b128 v56, v[27:30]
	ds_write_b128 v65, v[38:41]
	ds_write_b128 v65, v[5:8] offset:768
	ds_write_b128 v66, v[21:24]
	ds_write_b128 v66, v[17:20] offset:768
	ds_write_b128 v67, v[9:12]
	ds_write_b128 v67, v[13:16] offset:768
	s_waitcnt lgkmcnt(0)
	s_barrier
	ds_read_b128 v[5:8], v59
	ds_read_b128 v[1:4], v59 offset:4032
	ds_read_b128 v[29:32], v59 offset:10752
	;; [unrolled: 1-line block ×5, first 2 shown]
                                        ; implicit-def: $vgpr35_vgpr36
	s_and_saveexec_b64 s[2:3], s[0:1]
	s_cbranch_execz .LBB0_8
; %bb.7:
	v_add_u32_e32 v9, 0x1f80, v59
	ds_read_b128 v[9:12], v9
	ds_read_b128 v[13:16], v59 offset:18816
	ds_read_b128 v[33:36], v59 offset:29568
.LBB0_8:
	s_or_b64 exec, exec, s[2:3]
	v_and_b32_e32 v55, 15, v58
	v_lshlrev_b32_e32 v38, 5, v55
	global_load_dwordx4 v[39:42], v38, s[20:21] offset:128
	global_load_dwordx4 v[43:46], v38, s[20:21] offset:144
	v_and_b32_e32 v56, 15, v57
	v_and_b32_e32 v38, 15, v37
	v_lshlrev_b32_e32 v51, 5, v56
	v_lshlrev_b32_e32 v69, 5, v38
	global_load_dwordx4 v[47:50], v51, s[20:21] offset:128
	v_lshrrev_b32_e32 v70, 4, v57
	global_load_dwordx4 v[51:54], v51, s[20:21] offset:144
	s_nop 0
	global_load_dwordx4 v[61:64], v69, s[20:21] offset:128
	global_load_dwordx4 v[65:68], v69, s[20:21] offset:144
	v_lshrrev_b32_e32 v69, 4, v58
	v_mul_u32_u24_e32 v69, 48, v69
	v_mul_u32_u24_e32 v70, 48, v70
	v_or_b32_e32 v55, v69, v55
	v_or_b32_e32 v69, v70, v56
	v_mul_u32_u24_e32 v70, 0x60, v55
	v_mul_u32_u24_e32 v73, 0x60, v69
	v_add3_u32 v74, 0, v70, v60
	s_mov_b32 s2, 0xe8584caa
	s_mov_b32 s3, 0xbfebb67a
	;; [unrolled: 1-line block ×4, first 2 shown]
	s_waitcnt vmcnt(0) lgkmcnt(0)
	s_barrier
	v_mul_f64 v[55:56], v[31:32], v[41:42]
	v_mul_f64 v[41:42], v[29:30], v[41:42]
	;; [unrolled: 1-line block ×6, first 2 shown]
	v_fma_f64 v[29:30], v[29:30], v[39:40], v[55:56]
	v_fma_f64 v[31:32], v[31:32], v[39:40], -v[41:42]
	v_mul_f64 v[39:40], v[23:24], v[53:54]
	v_mul_f64 v[41:42], v[21:22], v[53:54]
	;; [unrolled: 1-line block ×4, first 2 shown]
	v_fma_f64 v[25:26], v[25:26], v[43:44], v[69:70]
	v_fma_f64 v[27:28], v[27:28], v[43:44], -v[45:46]
	v_mul_f64 v[43:44], v[35:36], v[67:68]
	v_mul_f64 v[45:46], v[33:34], v[67:68]
	v_fma_f64 v[63:64], v[17:18], v[47:48], v[71:72]
	v_fma_f64 v[47:48], v[19:20], v[47:48], -v[49:50]
	v_fma_f64 v[39:40], v[21:22], v[51:52], v[39:40]
	v_fma_f64 v[41:42], v[23:24], v[51:52], -v[41:42]
	v_fma_f64 v[13:14], v[13:14], v[61:62], v[53:54]
	v_fma_f64 v[19:20], v[15:16], v[61:62], -v[55:56]
	v_fma_f64 v[15:16], v[33:34], v[65:66], v[43:44]
	v_fma_f64 v[17:18], v[35:36], v[65:66], -v[45:46]
	v_add_f64 v[33:34], v[29:30], v[25:26]
	v_add_f64 v[35:36], v[31:32], -v[27:28]
	v_add_f64 v[23:24], v[7:8], v[31:32]
	v_add_f64 v[31:32], v[31:32], v[27:28]
	;; [unrolled: 1-line block ×3, first 2 shown]
	v_add_f64 v[49:50], v[47:48], -v[41:42]
	v_add_f64 v[51:52], v[3:4], v[47:48]
	v_add_f64 v[47:48], v[47:48], v[41:42]
	v_add_f64 v[55:56], v[13:14], v[15:16]
	v_add_f64 v[61:62], v[19:20], v[17:18]
	v_add_f64 v[21:22], v[5:6], v[29:30]
	v_add_f64 v[43:44], v[29:30], -v[25:26]
	v_add_f64 v[29:30], v[1:2], v[63:64]
	v_add_f64 v[53:54], v[63:64], -v[39:40]
	v_add_f64 v[63:64], v[19:20], -v[17:18]
	;; [unrolled: 1-line block ×3, first 2 shown]
	v_add_f64 v[23:24], v[23:24], v[27:28]
	v_fma_f64 v[5:6], v[33:34], -0.5, v[5:6]
	v_fma_f64 v[7:8], v[31:32], -0.5, v[7:8]
	;; [unrolled: 1-line block ×3, first 2 shown]
	v_add_f64 v[27:28], v[51:52], v[41:42]
	v_fma_f64 v[3:4], v[47:48], -0.5, v[3:4]
	v_fma_f64 v[47:48], v[55:56], -0.5, v[9:10]
	v_fma_f64 v[51:52], v[61:62], -0.5, v[11:12]
	v_add_f64 v[21:22], v[21:22], v[25:26]
	v_add_f64 v[25:26], v[29:30], v[39:40]
	v_fma_f64 v[29:30], v[35:36], s[2:3], v[5:6]
	v_fma_f64 v[33:34], v[35:36], s[6:7], v[5:6]
	;; [unrolled: 1-line block ×12, first 2 shown]
	v_add3_u32 v47, 0, v73, v60
	ds_write_b128 v74, v[21:24]
	ds_write_b128 v74, v[29:32] offset:1536
	ds_write_b128 v74, v[33:36] offset:3072
	ds_write_b128 v47, v[25:28]
	ds_write_b128 v47, v[39:42] offset:1536
	ds_write_b128 v47, v[43:46] offset:3072
	s_and_saveexec_b64 s[2:3], s[0:1]
	s_cbranch_execz .LBB0_10
; %bb.9:
	v_add_f64 v[11:12], v[11:12], v[19:20]
	v_add_f64 v[9:10], v[9:10], v[13:14]
	v_lshrrev_b32_e32 v13, 4, v37
	v_mul_u32_u24_e32 v13, 48, v13
	v_or_b32_e32 v13, v13, v38
	v_mul_u32_u24_e32 v13, 0x60, v13
	v_add3_u32 v13, 0, v13, v60
	v_add_f64 v[11:12], v[11:12], v[17:18]
	v_add_f64 v[9:10], v[9:10], v[15:16]
	ds_write_b128 v13, v[1:4] offset:1536
	ds_write_b128 v13, v[9:12]
	ds_write_b128 v13, v[5:8] offset:3072
.LBB0_10:
	s_or_b64 exec, exec, s[2:3]
	s_waitcnt lgkmcnt(0)
	s_barrier
	ds_read_b128 v[29:32], v59
	ds_read_b128 v[53:56], v59 offset:4608
	ds_read_b128 v[49:52], v59 offset:9216
	;; [unrolled: 1-line block ×6, first 2 shown]
	v_cmp_gt_u32_e64 s[0:1], 36, v0
                                        ; implicit-def: $vgpr27_vgpr28
                                        ; implicit-def: $vgpr23_vgpr24
                                        ; implicit-def: $vgpr19_vgpr20
                                        ; implicit-def: $vgpr15_vgpr16
                                        ; implicit-def: $vgpr11_vgpr12
	s_and_saveexec_b64 s[2:3], s[0:1]
	s_cbranch_execz .LBB0_12
; %bb.11:
	v_add_u32_e32 v1, 0xfc0, v59
	ds_read_b128 v[1:4], v1
	ds_read_b128 v[5:8], v59 offset:8640
	ds_read_b128 v[9:12], v59 offset:13248
	;; [unrolled: 1-line block ×6, first 2 shown]
.LBB0_12:
	s_or_b64 exec, exec, s[2:3]
	v_mul_lo_u16_e32 v61, 43, v58
	v_lshrrev_b16_e32 v81, 11, v61
	v_mul_lo_u16_e32 v61, 48, v81
	v_sub_u16_e32 v61, v58, v61
	v_and_b32_e32 v63, 0xff, v61
	v_mov_b32_e32 v62, s21
	s_movk_i32 s33, 0x60
	v_mov_b32_e32 v61, s20
	v_mad_u64_u32 v[73:74], s[2:3], v63, s33, v[61:62]
	global_load_dwordx4 v[61:64], v[73:74], off offset:640
	global_load_dwordx4 v[65:68], v[73:74], off offset:656
	;; [unrolled: 1-line block ×3, first 2 shown]
	s_movk_i32 s30, 0x120
	v_mad_u32_u24 v58, v81, s30, v58
	v_mul_u32_u24_e32 v58, 0x60, v58
	v_add3_u32 v58, 0, v58, v60
	s_load_dwordx2 s[2:3], s[4:5], 0x58
	s_mov_b32 s4, 0x37e14327
	s_mov_b32 s22, 0x36b3c0b5
	;; [unrolled: 1-line block ×20, first 2 shown]
	s_waitcnt vmcnt(2) lgkmcnt(0)
	v_mul_f64 v[75:76], v[55:56], v[63:64]
	v_mul_f64 v[63:64], v[53:54], v[63:64]
	s_waitcnt vmcnt(1)
	v_mul_f64 v[77:78], v[51:52], v[67:68]
	v_mul_f64 v[67:68], v[49:50], v[67:68]
	v_fma_f64 v[75:76], v[53:54], v[61:62], v[75:76]
	v_fma_f64 v[79:80], v[55:56], v[61:62], -v[63:64]
	global_load_dwordx4 v[53:56], v[73:74], off offset:672
	global_load_dwordx4 v[61:64], v[73:74], off offset:704
	v_fma_f64 v[77:78], v[49:50], v[65:66], v[77:78]
	v_fma_f64 v[65:66], v[51:52], v[65:66], -v[67:68]
	global_load_dwordx4 v[49:52], v[73:74], off offset:688
	s_waitcnt vmcnt(3)
	v_mul_f64 v[67:68], v[47:48], v[71:72]
	v_mul_f64 v[71:72], v[45:46], v[71:72]
	s_waitcnt vmcnt(0)
	s_barrier
	v_fma_f64 v[45:46], v[45:46], v[69:70], v[67:68]
	v_fma_f64 v[47:48], v[47:48], v[69:70], -v[71:72]
	v_mul_f64 v[73:74], v[39:40], v[55:56]
	v_mul_f64 v[67:68], v[43:44], v[63:64]
	v_mul_f64 v[63:64], v[41:42], v[63:64]
	v_mul_f64 v[55:56], v[37:38], v[55:56]
	v_mul_f64 v[69:70], v[35:36], v[51:52]
	v_mul_f64 v[51:52], v[33:34], v[51:52]
	v_fma_f64 v[37:38], v[37:38], v[53:54], v[73:74]
	v_fma_f64 v[41:42], v[41:42], v[61:62], v[67:68]
	v_fma_f64 v[43:44], v[43:44], v[61:62], -v[63:64]
	v_fma_f64 v[39:40], v[39:40], v[53:54], -v[55:56]
	v_fma_f64 v[33:34], v[33:34], v[49:50], v[69:70]
	v_fma_f64 v[35:36], v[35:36], v[49:50], -v[51:52]
	v_add_f64 v[49:50], v[75:76], v[45:46]
	v_add_f64 v[51:52], v[79:80], v[47:48]
	v_add_f64 v[45:46], v[75:76], -v[45:46]
	v_add_f64 v[53:54], v[77:78], v[41:42]
	v_add_f64 v[55:56], v[65:66], v[43:44]
	v_add_f64 v[41:42], v[77:78], -v[41:42]
	v_add_f64 v[43:44], v[65:66], -v[43:44]
	v_add_f64 v[60:61], v[37:38], v[33:34]
	v_add_f64 v[62:63], v[39:40], v[35:36]
	v_add_f64 v[33:34], v[33:34], -v[37:38]
	;; [unrolled: 4-line block ×3, first 2 shown]
	v_add_f64 v[64:65], v[53:54], -v[49:50]
	v_add_f64 v[66:67], v[55:56], -v[51:52]
	;; [unrolled: 1-line block ×6, first 2 shown]
	v_add_f64 v[68:69], v[33:34], v[41:42]
	v_add_f64 v[70:71], v[35:36], v[43:44]
	v_add_f64 v[72:73], v[33:34], -v[41:42]
	v_add_f64 v[74:75], v[35:36], -v[43:44]
	v_add_f64 v[37:38], v[60:61], v[37:38]
	v_add_f64 v[39:40], v[62:63], v[39:40]
	v_add_f64 v[41:42], v[41:42], -v[45:46]
	v_add_f64 v[43:44], v[43:44], -v[47:48]
	;; [unrolled: 1-line block ×4, first 2 shown]
	v_add_f64 v[45:46], v[68:69], v[45:46]
	v_add_f64 v[47:48], v[70:71], v[47:48]
	v_mul_f64 v[49:50], v[49:50], s[4:5]
	v_mul_f64 v[51:52], v[51:52], s[4:5]
	v_mul_f64 v[60:61], v[53:54], s[22:23]
	v_mul_f64 v[62:63], v[55:56], s[22:23]
	v_mul_f64 v[68:69], v[72:73], s[26:27]
	v_mul_f64 v[70:71], v[74:75], s[26:27]
	v_add_f64 v[29:30], v[29:30], v[37:38]
	v_add_f64 v[31:32], v[31:32], v[39:40]
	v_mul_f64 v[72:73], v[41:42], s[6:7]
	v_mul_f64 v[74:75], v[43:44], s[6:7]
	v_fma_f64 v[53:54], v[53:54], s[22:23], v[49:50]
	v_fma_f64 v[55:56], v[55:56], s[22:23], v[51:52]
	v_fma_f64 v[60:61], v[64:65], s[28:29], -v[60:61]
	v_fma_f64 v[62:63], v[66:67], s[28:29], -v[62:63]
	;; [unrolled: 1-line block ×4, first 2 shown]
	v_fma_f64 v[64:65], v[33:34], s[34:35], v[68:69]
	v_fma_f64 v[66:67], v[35:36], s[34:35], v[70:71]
	;; [unrolled: 1-line block ×4, first 2 shown]
	v_fma_f64 v[33:34], v[33:34], s[38:39], -v[72:73]
	v_fma_f64 v[35:36], v[35:36], s[38:39], -v[74:75]
	;; [unrolled: 1-line block ×4, first 2 shown]
	v_fma_f64 v[64:65], v[45:46], s[36:37], v[64:65]
	v_fma_f64 v[66:67], v[47:48], s[36:37], v[66:67]
	v_add_f64 v[53:54], v[53:54], v[37:38]
	v_add_f64 v[55:56], v[55:56], v[39:40]
	v_fma_f64 v[72:73], v[45:46], s[36:37], v[33:34]
	v_fma_f64 v[74:75], v[47:48], s[36:37], v[35:36]
	v_add_f64 v[49:50], v[49:50], v[37:38]
	v_add_f64 v[51:52], v[51:52], v[39:40]
	;; [unrolled: 4-line block ×3, first 2 shown]
	v_add_f64 v[33:34], v[66:67], v[53:54]
	v_add_f64 v[35:36], v[55:56], -v[64:65]
	v_add_f64 v[37:38], v[74:75], v[49:50]
	v_add_f64 v[39:40], v[51:52], -v[72:73]
	v_add_f64 v[49:50], v[49:50], -v[74:75]
	v_add_f64 v[51:52], v[72:73], v[51:52]
	v_add_f64 v[41:42], v[45:46], -v[70:71]
	v_add_f64 v[43:44], v[68:69], v[47:48]
	v_add_f64 v[45:46], v[70:71], v[45:46]
	v_add_f64 v[47:48], v[47:48], -v[68:69]
	v_add_f64 v[53:54], v[53:54], -v[66:67]
	v_add_f64 v[55:56], v[64:65], v[55:56]
	ds_write_b128 v58, v[29:32]
	ds_write_b128 v58, v[33:36] offset:4608
	ds_write_b128 v58, v[37:40] offset:9216
	;; [unrolled: 1-line block ×6, first 2 shown]
	s_and_saveexec_b64 s[40:41], s[0:1]
	s_cbranch_execz .LBB0_14
; %bb.13:
	v_mul_lo_u16_e32 v29, 43, v57
	v_lshrrev_b16_e32 v29, 11, v29
	v_mul_lo_u16_e32 v29, 48, v29
	v_sub_u16_e32 v29, v57, v29
	v_mul_hi_u32_u24_sdwa v30, v29, s33 dst_sel:DWORD dst_unused:UNUSED_PAD src0_sel:BYTE_0 src1_sel:DWORD
	v_mul_u32_u24_sdwa v29, v29, s33 dst_sel:DWORD dst_unused:UNUSED_PAD src0_sel:BYTE_0 src1_sel:DWORD
	v_mov_b32_e32 v31, s21
	v_add_co_u32_e64 v53, s[0:1], s20, v29
	v_addc_co_u32_e64 v54, s[0:1], v31, v30, s[0:1]
	global_load_dwordx4 v[29:32], v[53:54], off offset:688
	global_load_dwordx4 v[33:36], v[53:54], off offset:672
	;; [unrolled: 1-line block ×6, first 2 shown]
	s_waitcnt vmcnt(5)
	v_mul_f64 v[53:54], v[19:20], v[31:32]
	s_waitcnt vmcnt(4)
	v_mul_f64 v[55:56], v[15:16], v[35:36]
	;; [unrolled: 2-line block ×6, first 2 shown]
	v_mul_f64 v[39:40], v[9:10], v[39:40]
	v_mul_f64 v[43:44], v[21:22], v[43:44]
	;; [unrolled: 1-line block ×6, first 2 shown]
	v_fma_f64 v[9:10], v[9:10], v[37:38], v[57:58]
	v_fma_f64 v[21:22], v[21:22], v[41:42], v[60:61]
	;; [unrolled: 1-line block ×4, first 2 shown]
	v_fma_f64 v[11:12], v[11:12], v[37:38], -v[39:40]
	v_fma_f64 v[23:24], v[23:24], v[41:42], -v[43:44]
	;; [unrolled: 1-line block ×4, first 2 shown]
	v_fma_f64 v[17:18], v[17:18], v[29:30], v[53:54]
	v_fma_f64 v[13:14], v[13:14], v[33:34], v[55:56]
	v_fma_f64 v[15:16], v[15:16], v[33:34], -v[35:36]
	v_fma_f64 v[19:20], v[19:20], v[29:30], -v[31:32]
	v_add_f64 v[31:32], v[9:10], -v[21:22]
	v_add_f64 v[33:34], v[5:6], -v[25:26]
	v_add_f64 v[37:38], v[11:12], v[23:24]
	v_add_f64 v[39:40], v[7:8], v[27:28]
	;; [unrolled: 1-line block ×4, first 2 shown]
	v_add_f64 v[29:30], v[17:18], -v[13:14]
	v_add_f64 v[35:36], v[15:16], v[19:20]
	v_add_f64 v[13:14], v[13:14], v[17:18]
	v_add_f64 v[15:16], v[19:20], -v[15:16]
	v_add_f64 v[11:12], v[11:12], -v[23:24]
	;; [unrolled: 1-line block ×3, first 2 shown]
	v_add_f64 v[27:28], v[37:38], v[39:40]
	v_add_f64 v[43:44], v[9:10], v[5:6]
	;; [unrolled: 1-line block ×3, first 2 shown]
	v_add_f64 v[19:20], v[29:30], -v[31:32]
	v_add_f64 v[21:22], v[33:34], -v[29:30]
	;; [unrolled: 1-line block ×6, first 2 shown]
	v_add_f64 v[27:28], v[35:36], v[27:28]
	v_add_f64 v[13:14], v[13:14], v[43:44]
	v_add_f64 v[31:32], v[31:32], -v[33:34]
	v_add_f64 v[5:6], v[9:10], -v[5:6]
	;; [unrolled: 1-line block ×4, first 2 shown]
	v_add_f64 v[45:46], v[15:16], v[11:12]
	v_add_f64 v[15:16], v[7:8], -v[15:16]
	v_add_f64 v[37:38], v[37:38], -v[39:40]
	v_add_f64 v[11:12], v[17:18], v[33:34]
	v_mul_f64 v[17:18], v[19:20], s[26:27]
	v_mul_f64 v[25:26], v[25:26], s[4:5]
	;; [unrolled: 1-line block ×4, first 2 shown]
	v_add_f64 v[3:4], v[3:4], v[27:28]
	v_add_f64 v[1:2], v[1:2], v[13:14]
	v_mul_f64 v[41:42], v[31:32], s[6:7]
	v_mul_f64 v[43:44], v[9:10], s[6:7]
	;; [unrolled: 1-line block ×4, first 2 shown]
	v_add_f64 v[7:8], v[45:46], v[7:8]
	v_fma_f64 v[45:46], v[21:22], s[34:35], v[17:18]
	v_fma_f64 v[23:24], v[23:24], s[22:23], v[25:26]
	;; [unrolled: 1-line block ×6, first 2 shown]
	v_fma_f64 v[21:22], v[21:22], s[38:39], -v[41:42]
	v_fma_f64 v[25:26], v[37:38], s[30:31], -v[25:26]
	v_fma_f64 v[35:36], v[5:6], s[30:31], -v[35:36]
	v_fma_f64 v[15:16], v[15:16], s[38:39], -v[43:44]
	v_fma_f64 v[19:20], v[37:38], s[28:29], -v[19:20]
	v_fma_f64 v[17:18], v[31:32], s[6:7], -v[17:18]
	v_fma_f64 v[9:10], v[9:10], s[6:7], -v[39:40]
	v_fma_f64 v[5:6], v[5:6], s[28:29], -v[33:34]
	v_fma_f64 v[31:32], v[11:12], s[36:37], v[45:46]
	v_fma_f64 v[33:34], v[7:8], s[36:37], v[47:48]
	v_add_f64 v[37:38], v[23:24], v[27:28]
	v_add_f64 v[29:30], v[29:30], v[13:14]
	v_fma_f64 v[21:22], v[11:12], s[36:37], v[21:22]
	v_add_f64 v[23:24], v[25:26], v[27:28]
	v_fma_f64 v[39:40], v[7:8], s[36:37], v[15:16]
	;; [unrolled: 2-line block ×4, first 2 shown]
	v_add_f64 v[5:6], v[5:6], v[13:14]
	v_add_f64 v[27:28], v[37:38], -v[31:32]
	v_add_f64 v[25:26], v[33:34], v[29:30]
	v_add_f64 v[11:12], v[21:22], v[23:24]
	v_add_f64 v[23:24], v[23:24], -v[21:22]
	v_add_f64 v[21:22], v[39:40], v[35:36]
	v_add_f64 v[15:16], v[19:20], -v[17:18]
	;; [unrolled: 2-line block ×5, first 2 shown]
	ds_write_b128 v59, v[1:4] offset:4032
	ds_write_b128 v59, v[25:28] offset:8640
	;; [unrolled: 1-line block ×7, first 2 shown]
.LBB0_14:
	s_or_b64 exec, exec, s[40:41]
	s_mul_i32 s0, s10, s17
	s_mul_hi_u32 s1, s10, s19
	s_add_i32 s0, s1, s0
	s_mul_i32 s1, s11, s19
	s_mul_i32 s4, s13, s16
	s_mul_hi_u32 s5, s12, s16
	s_add_i32 s0, s0, s1
	s_mul_i32 s1, s10, s19
	s_add_i32 s5, s5, s4
	s_mul_i32 s4, s12, s16
	s_add_u32 s1, s4, s1
	s_addc_u32 s4, s5, s0
	s_mul_i32 s0, s15, s18
	s_mul_hi_u32 s5, s14, s18
	s_add_i32 s5, s5, s0
	s_mul_i32 s0, s14, s18
	s_add_u32 s0, s0, s1
	s_addc_u32 s1, s5, s4
	s_andn2_b64 vcc, exec, vcc
	s_mov_b64 s[4:5], -1
	s_waitcnt lgkmcnt(0)
	s_barrier
	s_cbranch_vccz .LBB0_17
; %bb.15:
	s_and_b64 vcc, exec, s[4:5]
	s_cbranch_vccnz .LBB0_20
.LBB0_16:
	s_endpgm
.LBB0_17:
	s_lshl_b64 s[4:5], s[0:1], 4
	s_add_u32 s6, s2, s4
	s_addc_u32 s7, s3, s5
	s_mov_b64 s[4:5], 0
	v_mov_b32_e32 v1, s7
	s_movk_i32 s7, 0x7df
	v_mov_b32_e32 v2, v0
.LBB0_18:                               ; =>This Inner Loop Header: Depth=1
	v_lshrrev_b16_e32 v3, 4, v2
	v_mul_u32_u24_e32 v3, 0xc31, v3
	v_lshrrev_b32_e32 v11, 16, v3
	v_mul_lo_u16_e32 v3, 0x150, v11
	v_sub_u16_e32 v13, v2, v3
	v_mad_u64_u32 v[7:8], s[12:13], s10, v11, 0
	v_mad_u64_u32 v[9:10], s[12:13], s8, v13, 0
	v_mad_legacy_u16 v3, v13, 6, v11
	v_add_u32_e32 v2, 0xfc, v2
	v_mad_u64_u32 v[11:12], s[12:13], s11, v11, v[8:9]
	v_mov_b32_e32 v8, v10
	v_mad_u64_u32 v[12:13], s[12:13], s9, v13, v[8:9]
	v_lshl_add_u32 v3, v3, 4, 0
	v_cmp_lt_u32_e32 vcc, s7, v2
	v_mov_b32_e32 v10, v12
	v_lshlrev_b64 v[9:10], 4, v[9:10]
	ds_read_b128 v[3:6], v3
	v_mov_b32_e32 v8, v11
	s_or_b64 s[4:5], vcc, s[4:5]
	v_lshlrev_b64 v[7:8], 4, v[7:8]
	v_add_co_u32_e32 v9, vcc, s6, v9
	v_addc_co_u32_e32 v10, vcc, v1, v10, vcc
	v_add_co_u32_e32 v7, vcc, v9, v7
	v_addc_co_u32_e32 v8, vcc, v10, v8, vcc
	s_waitcnt lgkmcnt(0)
	global_store_dwordx4 v[7:8], v[3:6], off
	s_andn2_b64 exec, exec, s[4:5]
	s_cbranch_execnz .LBB0_18
; %bb.19:
	s_or_b64 exec, exec, s[4:5]
	s_branch .LBB0_16
.LBB0_20:
	v_and_b32_e32 v3, 0xffff, v0
	v_mad_u64_u32 v[1:2], s[4:5], s8, v3, 0
	v_add_u16_e32 v5, 0xfc, v0
	v_mul_u32_u24_e32 v6, 0x187, v5
	v_lshrrev_b32_e32 v6, 17, v6
	v_mad_u64_u32 v[2:3], s[4:5], s9, v3, v[2:3]
	s_lshl_b64 s[0:1], s[0:1], 4
	v_mul_lo_u16_e32 v7, 0x150, v6
	s_add_u32 s0, s2, s0
	v_sub_u16_e32 v5, v5, v7
	s_addc_u32 s1, s3, s1
	v_mad_u64_u32 v[9:10], s[2:3], s8, v5, 0
	v_lshlrev_b64 v[1:2], 4, v[1:2]
	v_mul_lo_u16_e32 v4, 6, v0
	v_lshl_add_u32 v3, v4, 4, 0
	v_mov_b32_e32 v4, s1
	v_add_co_u32_e32 v11, vcc, s0, v1
	v_mov_b32_e32 v1, v10
	v_addc_co_u32_e32 v12, vcc, v4, v2, vcc
	v_mad_u64_u32 v[13:14], s[2:3], s9, v5, v[1:2]
	ds_read_b128 v[1:4], v3
	v_mul_lo_u16_e32 v5, 6, v5
	v_or_b32_e32 v5, v5, v6
	v_mul_lo_u32 v16, s11, v6
	v_mad_u64_u32 v[14:15], s[2:3], s10, v6, 0
	v_and_b32_e32 v5, 0xffff, v5
	v_lshl_add_u32 v5, v5, 4, 0
	ds_read_b128 v[5:8], v5
	v_mov_b32_e32 v10, v13
	s_waitcnt lgkmcnt(1)
	global_store_dwordx4 v[11:12], v[1:4], off
	v_or_b32_e32 v15, v15, v16
	v_lshlrev_b64 v[1:2], 4, v[9:10]
	v_mov_b32_e32 v3, s1
	v_add_co_u32_e32 v16, vcc, s0, v1
	v_add_u16_e32 v1, 0x1f8, v0
	v_addc_co_u32_e32 v17, vcc, v3, v2, vcc
	v_mul_u32_u24_e32 v2, 0x619, v1
	v_lshrrev_b32_e32 v18, 19, v2
	v_mul_lo_u16_e32 v2, 0x150, v18
	v_sub_u16_e32 v19, v1, v2
	v_mad_u64_u32 v[1:2], s[2:3], s8, v19, 0
	v_mad_u64_u32 v[9:10], s[2:3], s10, v18, 0
	v_lshlrev_b64 v[3:4], 4, v[14:15]
	v_mad_u64_u32 v[11:12], s[2:3], s9, v19, v[2:3]
	v_mov_b32_e32 v2, v10
	v_mad_u64_u32 v[12:13], s[2:3], s11, v18, v[2:3]
	v_add_co_u32_e32 v2, vcc, v16, v3
	v_addc_co_u32_e32 v3, vcc, v17, v4, vcc
	s_waitcnt lgkmcnt(0)
	global_store_dwordx4 v[2:3], v[5:8], off
	v_mov_b32_e32 v2, v11
	v_add_u16_e32 v6, 0x2f4, v0
	v_mul_u32_u24_e32 v7, 0x619, v6
	v_lshlrev_b64 v[1:2], 4, v[1:2]
	v_lshrrev_b32_e32 v7, 19, v7
	v_mul_lo_u16_e32 v8, 0x150, v7
	v_mov_b32_e32 v10, v12
	v_mov_b32_e32 v4, s1
	v_add_co_u32_e32 v5, vcc, s0, v1
	v_sub_u16_e32 v6, v6, v8
	v_addc_co_u32_e32 v4, vcc, v4, v2, vcc
	v_lshlrev_b64 v[1:2], 4, v[9:10]
	v_mad_u64_u32 v[9:10], s[2:3], s8, v6, 0
	v_mad_legacy_u16 v3, v19, 6, v18
	v_mad_u64_u32 v[13:14], s[2:3], s10, v7, 0
	v_lshl_add_u32 v3, v3, 4, 0
	v_add_co_u32_e32 v11, vcc, v5, v1
	v_mov_b32_e32 v1, v10
	v_addc_co_u32_e32 v12, vcc, v4, v2, vcc
	v_mad_u64_u32 v[15:16], s[2:3], s9, v6, v[1:2]
	ds_read_b128 v[1:4], v3
	v_mov_b32_e32 v5, v14
	v_mad_u64_u32 v[16:17], s[2:3], s11, v7, v[5:6]
	v_mad_legacy_u16 v5, v6, 6, v7
	v_lshl_add_u32 v5, v5, 4, 0
	ds_read_b128 v[5:8], v5
	v_mov_b32_e32 v10, v15
	s_waitcnt lgkmcnt(1)
	global_store_dwordx4 v[11:12], v[1:4], off
	v_mov_b32_e32 v14, v16
	v_lshlrev_b64 v[1:2], 4, v[9:10]
	v_mov_b32_e32 v3, s1
	v_add_co_u32_e32 v15, vcc, s0, v1
	v_add_u16_e32 v1, 0x3f0, v0
	v_addc_co_u32_e32 v16, vcc, v3, v2, vcc
	v_mul_u32_u24_e32 v2, 0x619, v1
	v_lshrrev_b32_e32 v17, 19, v2
	v_mul_lo_u16_e32 v2, 0x150, v17
	v_sub_u16_e32 v18, v1, v2
	v_mad_u64_u32 v[1:2], s[2:3], s8, v18, 0
	v_mad_u64_u32 v[9:10], s[2:3], s10, v17, 0
	v_lshlrev_b64 v[3:4], 4, v[13:14]
	v_mad_u64_u32 v[11:12], s[2:3], s9, v18, v[2:3]
	v_mov_b32_e32 v2, v10
	v_mad_u64_u32 v[12:13], s[2:3], s11, v17, v[2:3]
	v_add_co_u32_e32 v2, vcc, v15, v3
	v_addc_co_u32_e32 v3, vcc, v16, v4, vcc
	s_waitcnt lgkmcnt(0)
	global_store_dwordx4 v[2:3], v[5:8], off
	v_mov_b32_e32 v2, v11
	v_add_u16_e32 v6, 0x4ec, v0
	v_mul_u32_u24_e32 v7, 0x619, v6
	v_lshlrev_b64 v[1:2], 4, v[1:2]
	v_lshrrev_b32_e32 v7, 19, v7
	v_mul_lo_u16_e32 v8, 0x150, v7
	v_mov_b32_e32 v10, v12
	v_mov_b32_e32 v4, s1
	v_add_co_u32_e32 v5, vcc, s0, v1
	v_sub_u16_e32 v6, v6, v8
	v_addc_co_u32_e32 v4, vcc, v4, v2, vcc
	v_lshlrev_b64 v[1:2], 4, v[9:10]
	v_mad_u64_u32 v[9:10], s[2:3], s8, v6, 0
	v_mad_legacy_u16 v3, v18, 6, v17
	v_mad_u64_u32 v[13:14], s[2:3], s10, v7, 0
	v_lshl_add_u32 v3, v3, 4, 0
	v_add_co_u32_e32 v11, vcc, v5, v1
	v_mov_b32_e32 v1, v10
	v_addc_co_u32_e32 v12, vcc, v4, v2, vcc
	v_mad_u64_u32 v[15:16], s[2:3], s9, v6, v[1:2]
	ds_read_b128 v[1:4], v3
	v_mov_b32_e32 v5, v14
	v_mad_u64_u32 v[16:17], s[2:3], s11, v7, v[5:6]
	v_mad_legacy_u16 v5, v6, 6, v7
	v_lshl_add_u32 v5, v5, 4, 0
	ds_read_b128 v[5:8], v5
	v_mov_b32_e32 v10, v15
	s_waitcnt lgkmcnt(1)
	global_store_dwordx4 v[11:12], v[1:4], off
	v_mov_b32_e32 v14, v16
	v_lshlrev_b64 v[1:2], 4, v[9:10]
	v_mov_b32_e32 v3, s1
	v_add_co_u32_e32 v15, vcc, s0, v1
	v_add_u16_e32 v1, 0x5e8, v0
	v_addc_co_u32_e32 v16, vcc, v3, v2, vcc
	v_mul_u32_u24_e32 v2, 0x619, v1
	v_lshrrev_b32_e32 v17, 19, v2
	v_mul_lo_u16_e32 v2, 0x150, v17
	v_sub_u16_e32 v18, v1, v2
	v_mad_u64_u32 v[1:2], s[2:3], s8, v18, 0
	v_mad_u64_u32 v[9:10], s[2:3], s10, v17, 0
	v_lshlrev_b64 v[3:4], 4, v[13:14]
	v_add_u16_e32 v0, 0x6e4, v0
	v_mad_u64_u32 v[11:12], s[2:3], s9, v18, v[2:3]
	v_mov_b32_e32 v2, v10
	v_mad_u64_u32 v[12:13], s[2:3], s11, v17, v[2:3]
	v_add_co_u32_e32 v2, vcc, v15, v3
	v_addc_co_u32_e32 v3, vcc, v16, v4, vcc
	s_waitcnt lgkmcnt(0)
	global_store_dwordx4 v[2:3], v[5:8], off
	v_mov_b32_e32 v2, v11
	v_mul_u32_u24_e32 v6, 0x619, v0
	v_lshlrev_b64 v[1:2], 4, v[1:2]
	v_lshrrev_b32_e32 v6, 19, v6
	v_mul_lo_u16_e32 v7, 0x150, v6
	v_mov_b32_e32 v10, v12
	v_mov_b32_e32 v4, s1
	v_add_co_u32_e32 v5, vcc, s0, v1
	v_sub_u16_e32 v7, v0, v7
	v_addc_co_u32_e32 v4, vcc, v4, v2, vcc
	v_lshlrev_b64 v[1:2], 4, v[9:10]
	v_mad_u64_u32 v[8:9], s[2:3], s8, v7, 0
	v_mad_legacy_u16 v3, v18, 6, v17
	v_mad_u64_u32 v[12:13], s[2:3], s10, v6, 0
	v_lshl_add_u32 v3, v3, 4, 0
	v_add_co_u32_e32 v10, vcc, v5, v1
	v_mov_b32_e32 v0, v9
	v_addc_co_u32_e32 v11, vcc, v4, v2, vcc
	v_mad_u64_u32 v[14:15], s[2:3], s9, v7, v[0:1]
	ds_read_b128 v[0:3], v3
	v_mov_b32_e32 v4, v13
	v_mad_u64_u32 v[15:16], s[2:3], s11, v6, v[4:5]
	v_mad_legacy_u16 v4, v7, 6, v6
	v_lshl_add_u32 v4, v4, 4, 0
	ds_read_b128 v[4:7], v4
	v_mov_b32_e32 v9, v14
	s_waitcnt lgkmcnt(1)
	global_store_dwordx4 v[10:11], v[0:3], off
	v_mov_b32_e32 v13, v15
	v_lshlrev_b64 v[0:1], 4, v[8:9]
	v_mov_b32_e32 v2, s1
	v_add_co_u32_e32 v3, vcc, s0, v0
	v_addc_co_u32_e32 v2, vcc, v2, v1, vcc
	v_lshlrev_b64 v[0:1], 4, v[12:13]
	v_add_co_u32_e32 v0, vcc, v3, v0
	v_addc_co_u32_e32 v1, vcc, v2, v1, vcc
	s_waitcnt lgkmcnt(0)
	global_store_dwordx4 v[0:1], v[4:7], off
	s_endpgm
	.section	.rodata,"a",@progbits
	.p2align	6, 0x0
	.amdhsa_kernel fft_rtc_back_len336_factors_8_2_3_7_wgs_252_tpt_42_dim3_dp_op_CI_CI_sbcr_dirReg_intrinsicReadWrite
		.amdhsa_group_segment_fixed_size 0
		.amdhsa_private_segment_fixed_size 0
		.amdhsa_kernarg_size 96
		.amdhsa_user_sgpr_count 6
		.amdhsa_user_sgpr_private_segment_buffer 1
		.amdhsa_user_sgpr_dispatch_ptr 0
		.amdhsa_user_sgpr_queue_ptr 0
		.amdhsa_user_sgpr_kernarg_segment_ptr 1
		.amdhsa_user_sgpr_dispatch_id 0
		.amdhsa_user_sgpr_flat_scratch_init 0
		.amdhsa_user_sgpr_private_segment_size 0
		.amdhsa_uses_dynamic_stack 0
		.amdhsa_system_sgpr_private_segment_wavefront_offset 0
		.amdhsa_system_sgpr_workgroup_id_x 1
		.amdhsa_system_sgpr_workgroup_id_y 0
		.amdhsa_system_sgpr_workgroup_id_z 0
		.amdhsa_system_sgpr_workgroup_info 0
		.amdhsa_system_vgpr_workitem_id 0
		.amdhsa_next_free_vgpr 82
		.amdhsa_next_free_sgpr 42
		.amdhsa_reserve_vcc 1
		.amdhsa_reserve_flat_scratch 0
		.amdhsa_float_round_mode_32 0
		.amdhsa_float_round_mode_16_64 0
		.amdhsa_float_denorm_mode_32 3
		.amdhsa_float_denorm_mode_16_64 3
		.amdhsa_dx10_clamp 1
		.amdhsa_ieee_mode 1
		.amdhsa_fp16_overflow 0
		.amdhsa_exception_fp_ieee_invalid_op 0
		.amdhsa_exception_fp_denorm_src 0
		.amdhsa_exception_fp_ieee_div_zero 0
		.amdhsa_exception_fp_ieee_overflow 0
		.amdhsa_exception_fp_ieee_underflow 0
		.amdhsa_exception_fp_ieee_inexact 0
		.amdhsa_exception_int_div_zero 0
	.end_amdhsa_kernel
	.text
.Lfunc_end0:
	.size	fft_rtc_back_len336_factors_8_2_3_7_wgs_252_tpt_42_dim3_dp_op_CI_CI_sbcr_dirReg_intrinsicReadWrite, .Lfunc_end0-fft_rtc_back_len336_factors_8_2_3_7_wgs_252_tpt_42_dim3_dp_op_CI_CI_sbcr_dirReg_intrinsicReadWrite
                                        ; -- End function
	.section	.AMDGPU.csdata,"",@progbits
; Kernel info:
; codeLenInByte = 7080
; NumSgprs: 46
; NumVgprs: 82
; ScratchSize: 0
; MemoryBound: 0
; FloatMode: 240
; IeeeMode: 1
; LDSByteSize: 0 bytes/workgroup (compile time only)
; SGPRBlocks: 5
; VGPRBlocks: 20
; NumSGPRsForWavesPerEU: 46
; NumVGPRsForWavesPerEU: 82
; Occupancy: 3
; WaveLimiterHint : 1
; COMPUTE_PGM_RSRC2:SCRATCH_EN: 0
; COMPUTE_PGM_RSRC2:USER_SGPR: 6
; COMPUTE_PGM_RSRC2:TRAP_HANDLER: 0
; COMPUTE_PGM_RSRC2:TGID_X_EN: 1
; COMPUTE_PGM_RSRC2:TGID_Y_EN: 0
; COMPUTE_PGM_RSRC2:TGID_Z_EN: 0
; COMPUTE_PGM_RSRC2:TIDIG_COMP_CNT: 0
	.type	__hip_cuid_f7d67d9cc258b1e4,@object ; @__hip_cuid_f7d67d9cc258b1e4
	.section	.bss,"aw",@nobits
	.globl	__hip_cuid_f7d67d9cc258b1e4
__hip_cuid_f7d67d9cc258b1e4:
	.byte	0                               ; 0x0
	.size	__hip_cuid_f7d67d9cc258b1e4, 1

	.ident	"AMD clang version 19.0.0git (https://github.com/RadeonOpenCompute/llvm-project roc-6.4.0 25133 c7fe45cf4b819c5991fe208aaa96edf142730f1d)"
	.section	".note.GNU-stack","",@progbits
	.addrsig
	.addrsig_sym __hip_cuid_f7d67d9cc258b1e4
	.amdgpu_metadata
---
amdhsa.kernels:
  - .args:
      - .actual_access:  read_only
        .address_space:  global
        .offset:         0
        .size:           8
        .value_kind:     global_buffer
      - .actual_access:  read_only
        .address_space:  global
        .offset:         8
        .size:           8
        .value_kind:     global_buffer
      - .actual_access:  read_only
        .address_space:  global
        .offset:         16
        .size:           8
        .value_kind:     global_buffer
      - .actual_access:  read_only
        .address_space:  global
        .offset:         24
        .size:           8
        .value_kind:     global_buffer
      - .offset:         32
        .size:           8
        .value_kind:     by_value
      - .actual_access:  read_only
        .address_space:  global
        .offset:         40
        .size:           8
        .value_kind:     global_buffer
      - .actual_access:  read_only
        .address_space:  global
        .offset:         48
        .size:           8
        .value_kind:     global_buffer
      - .offset:         56
        .size:           4
        .value_kind:     by_value
      - .actual_access:  read_only
        .address_space:  global
        .offset:         64
        .size:           8
        .value_kind:     global_buffer
      - .actual_access:  read_only
        .address_space:  global
        .offset:         72
        .size:           8
        .value_kind:     global_buffer
      - .address_space:  global
        .offset:         80
        .size:           8
        .value_kind:     global_buffer
      - .actual_access:  write_only
        .address_space:  global
        .offset:         88
        .size:           8
        .value_kind:     global_buffer
    .group_segment_fixed_size: 0
    .kernarg_segment_align: 8
    .kernarg_segment_size: 96
    .language:       OpenCL C
    .language_version:
      - 2
      - 0
    .max_flat_workgroup_size: 252
    .name:           fft_rtc_back_len336_factors_8_2_3_7_wgs_252_tpt_42_dim3_dp_op_CI_CI_sbcr_dirReg_intrinsicReadWrite
    .private_segment_fixed_size: 0
    .sgpr_count:     46
    .sgpr_spill_count: 0
    .symbol:         fft_rtc_back_len336_factors_8_2_3_7_wgs_252_tpt_42_dim3_dp_op_CI_CI_sbcr_dirReg_intrinsicReadWrite.kd
    .uniform_work_group_size: 1
    .uses_dynamic_stack: false
    .vgpr_count:     82
    .vgpr_spill_count: 0
    .wavefront_size: 64
amdhsa.target:   amdgcn-amd-amdhsa--gfx906
amdhsa.version:
  - 1
  - 2
...

	.end_amdgpu_metadata
